;; amdgpu-corpus repo=ROCm/rocFFT kind=compiled arch=gfx1201 opt=O3
	.text
	.amdgcn_target "amdgcn-amd-amdhsa--gfx1201"
	.amdhsa_code_object_version 6
	.protected	fft_rtc_fwd_len1250_factors_5_10_5_5_wgs_250_tpt_250_halfLds_sp_op_CI_CI_sbrr_dirReg ; -- Begin function fft_rtc_fwd_len1250_factors_5_10_5_5_wgs_250_tpt_250_halfLds_sp_op_CI_CI_sbrr_dirReg
	.globl	fft_rtc_fwd_len1250_factors_5_10_5_5_wgs_250_tpt_250_halfLds_sp_op_CI_CI_sbrr_dirReg
	.p2align	8
	.type	fft_rtc_fwd_len1250_factors_5_10_5_5_wgs_250_tpt_250_halfLds_sp_op_CI_CI_sbrr_dirReg,@function
fft_rtc_fwd_len1250_factors_5_10_5_5_wgs_250_tpt_250_halfLds_sp_op_CI_CI_sbrr_dirReg: ; @fft_rtc_fwd_len1250_factors_5_10_5_5_wgs_250_tpt_250_halfLds_sp_op_CI_CI_sbrr_dirReg
; %bb.0:
	s_clause 0x2
	s_load_b128 s[12:15], s[0:1], 0x18
	s_load_b128 s[8:11], s[0:1], 0x0
	;; [unrolled: 1-line block ×3, first 2 shown]
	v_mul_u32_u24_e32 v1, 0x107, v0
	v_mov_b32_e32 v7, 0
	v_mov_b32_e32 v5, 0
	;; [unrolled: 1-line block ×3, first 2 shown]
	s_wait_kmcnt 0x0
	s_load_b64 s[18:19], s[12:13], 0x0
	s_load_b64 s[16:17], s[14:15], 0x0
	v_lshrrev_b32_e32 v1, 16, v1
	v_cmp_lt_u64_e64 s2, s[10:11], 2
	s_delay_alu instid0(VALU_DEP_2) | instskip(NEXT) | instid1(VALU_DEP_2)
	v_dual_mov_b32 v10, v7 :: v_dual_add_nc_u32 v9, ttmp9, v1
	s_and_b32 vcc_lo, exec_lo, s2
	s_cbranch_vccnz .LBB0_8
; %bb.1:
	s_load_b64 s[2:3], s[0:1], 0x10
	v_mov_b32_e32 v5, 0
	v_mov_b32_e32 v6, 0
	s_delay_alu instid0(VALU_DEP_2)
	v_mov_b32_e32 v1, v5
	s_add_nc_u64 s[20:21], s[14:15], 8
	s_add_nc_u64 s[22:23], s[12:13], 8
	s_mov_b64 s[24:25], 1
	v_mov_b32_e32 v2, v6
	s_wait_kmcnt 0x0
	s_add_nc_u64 s[26:27], s[2:3], 8
	s_mov_b32 s3, 0
.LBB0_2:                                ; =>This Inner Loop Header: Depth=1
	s_load_b64 s[28:29], s[26:27], 0x0
                                        ; implicit-def: $vgpr3_vgpr4
	s_mov_b32 s2, exec_lo
	s_wait_kmcnt 0x0
	v_or_b32_e32 v8, s29, v10
	s_delay_alu instid0(VALU_DEP_1)
	v_cmpx_ne_u64_e32 0, v[7:8]
	s_wait_alu 0xfffe
	s_xor_b32 s30, exec_lo, s2
	s_cbranch_execz .LBB0_4
; %bb.3:                                ;   in Loop: Header=BB0_2 Depth=1
	s_cvt_f32_u32 s2, s28
	s_cvt_f32_u32 s31, s29
	s_sub_nc_u64 s[36:37], 0, s[28:29]
	s_wait_alu 0xfffe
	s_delay_alu instid0(SALU_CYCLE_1) | instskip(SKIP_1) | instid1(SALU_CYCLE_2)
	s_fmamk_f32 s2, s31, 0x4f800000, s2
	s_wait_alu 0xfffe
	v_s_rcp_f32 s2, s2
	s_delay_alu instid0(TRANS32_DEP_1) | instskip(SKIP_1) | instid1(SALU_CYCLE_2)
	s_mul_f32 s2, s2, 0x5f7ffffc
	s_wait_alu 0xfffe
	s_mul_f32 s31, s2, 0x2f800000
	s_wait_alu 0xfffe
	s_delay_alu instid0(SALU_CYCLE_2) | instskip(SKIP_1) | instid1(SALU_CYCLE_2)
	s_trunc_f32 s31, s31
	s_wait_alu 0xfffe
	s_fmamk_f32 s2, s31, 0xcf800000, s2
	s_cvt_u32_f32 s35, s31
	s_wait_alu 0xfffe
	s_delay_alu instid0(SALU_CYCLE_1) | instskip(SKIP_1) | instid1(SALU_CYCLE_2)
	s_cvt_u32_f32 s34, s2
	s_wait_alu 0xfffe
	s_mul_u64 s[38:39], s[36:37], s[34:35]
	s_wait_alu 0xfffe
	s_mul_hi_u32 s41, s34, s39
	s_mul_i32 s40, s34, s39
	s_mul_hi_u32 s2, s34, s38
	s_mul_i32 s33, s35, s38
	s_wait_alu 0xfffe
	s_add_nc_u64 s[40:41], s[2:3], s[40:41]
	s_mul_hi_u32 s31, s35, s38
	s_mul_hi_u32 s42, s35, s39
	s_add_co_u32 s2, s40, s33
	s_wait_alu 0xfffe
	s_add_co_ci_u32 s2, s41, s31
	s_mul_i32 s38, s35, s39
	s_add_co_ci_u32 s39, s42, 0
	s_wait_alu 0xfffe
	s_add_nc_u64 s[38:39], s[2:3], s[38:39]
	s_wait_alu 0xfffe
	v_add_co_u32 v3, s2, s34, s38
	s_delay_alu instid0(VALU_DEP_1) | instskip(SKIP_1) | instid1(VALU_DEP_1)
	s_cmp_lg_u32 s2, 0
	s_add_co_ci_u32 s35, s35, s39
	v_readfirstlane_b32 s34, v3
	s_wait_alu 0xfffe
	s_delay_alu instid0(VALU_DEP_1)
	s_mul_u64 s[36:37], s[36:37], s[34:35]
	s_wait_alu 0xfffe
	s_mul_hi_u32 s39, s34, s37
	s_mul_i32 s38, s34, s37
	s_mul_hi_u32 s2, s34, s36
	s_mul_i32 s33, s35, s36
	s_wait_alu 0xfffe
	s_add_nc_u64 s[38:39], s[2:3], s[38:39]
	s_mul_hi_u32 s31, s35, s36
	s_mul_hi_u32 s34, s35, s37
	s_wait_alu 0xfffe
	s_add_co_u32 s2, s38, s33
	s_add_co_ci_u32 s2, s39, s31
	s_mul_i32 s36, s35, s37
	s_add_co_ci_u32 s37, s34, 0
	s_wait_alu 0xfffe
	s_add_nc_u64 s[36:37], s[2:3], s[36:37]
	s_wait_alu 0xfffe
	v_add_co_u32 v8, s2, v3, s36
	s_delay_alu instid0(VALU_DEP_1) | instskip(SKIP_1) | instid1(VALU_DEP_1)
	s_cmp_lg_u32 s2, 0
	s_add_co_ci_u32 s2, s35, s37
	v_mul_hi_u32 v15, v9, v8
	s_wait_alu 0xfffe
	v_mad_co_u64_u32 v[3:4], null, v9, s2, 0
	v_mad_co_u64_u32 v[11:12], null, v10, v8, 0
	;; [unrolled: 1-line block ×3, first 2 shown]
	s_delay_alu instid0(VALU_DEP_3) | instskip(SKIP_1) | instid1(VALU_DEP_4)
	v_add_co_u32 v3, vcc_lo, v15, v3
	s_wait_alu 0xfffd
	v_add_co_ci_u32_e32 v4, vcc_lo, 0, v4, vcc_lo
	s_delay_alu instid0(VALU_DEP_2) | instskip(SKIP_1) | instid1(VALU_DEP_2)
	v_add_co_u32 v3, vcc_lo, v3, v11
	s_wait_alu 0xfffd
	v_add_co_ci_u32_e32 v3, vcc_lo, v4, v12, vcc_lo
	s_wait_alu 0xfffd
	v_add_co_ci_u32_e32 v4, vcc_lo, 0, v14, vcc_lo
	s_delay_alu instid0(VALU_DEP_2) | instskip(SKIP_1) | instid1(VALU_DEP_2)
	v_add_co_u32 v8, vcc_lo, v3, v13
	s_wait_alu 0xfffd
	v_add_co_ci_u32_e32 v11, vcc_lo, 0, v4, vcc_lo
	s_delay_alu instid0(VALU_DEP_2) | instskip(SKIP_1) | instid1(VALU_DEP_3)
	v_mul_lo_u32 v12, s29, v8
	v_mad_co_u64_u32 v[3:4], null, s28, v8, 0
	v_mul_lo_u32 v13, s28, v11
	s_delay_alu instid0(VALU_DEP_2) | instskip(NEXT) | instid1(VALU_DEP_2)
	v_sub_co_u32 v3, vcc_lo, v9, v3
	v_add3_u32 v4, v4, v13, v12
	s_delay_alu instid0(VALU_DEP_1) | instskip(SKIP_1) | instid1(VALU_DEP_1)
	v_sub_nc_u32_e32 v12, v10, v4
	s_wait_alu 0xfffd
	v_subrev_co_ci_u32_e64 v12, s2, s29, v12, vcc_lo
	v_add_co_u32 v13, s2, v8, 2
	s_wait_alu 0xf1ff
	v_add_co_ci_u32_e64 v14, s2, 0, v11, s2
	v_sub_co_u32 v15, s2, v3, s28
	v_sub_co_ci_u32_e32 v4, vcc_lo, v10, v4, vcc_lo
	s_wait_alu 0xf1ff
	v_subrev_co_ci_u32_e64 v12, s2, 0, v12, s2
	s_delay_alu instid0(VALU_DEP_3) | instskip(NEXT) | instid1(VALU_DEP_3)
	v_cmp_le_u32_e32 vcc_lo, s28, v15
	v_cmp_eq_u32_e64 s2, s29, v4
	s_wait_alu 0xfffd
	v_cndmask_b32_e64 v15, 0, -1, vcc_lo
	v_cmp_le_u32_e32 vcc_lo, s29, v12
	s_wait_alu 0xfffd
	v_cndmask_b32_e64 v16, 0, -1, vcc_lo
	v_cmp_le_u32_e32 vcc_lo, s28, v3
	;; [unrolled: 3-line block ×3, first 2 shown]
	s_wait_alu 0xfffd
	v_cndmask_b32_e64 v17, 0, -1, vcc_lo
	v_cmp_eq_u32_e32 vcc_lo, s29, v12
	s_wait_alu 0xf1ff
	s_delay_alu instid0(VALU_DEP_2)
	v_cndmask_b32_e64 v3, v17, v3, s2
	s_wait_alu 0xfffd
	v_cndmask_b32_e32 v12, v16, v15, vcc_lo
	v_add_co_u32 v15, vcc_lo, v8, 1
	s_wait_alu 0xfffd
	v_add_co_ci_u32_e32 v16, vcc_lo, 0, v11, vcc_lo
	s_delay_alu instid0(VALU_DEP_3) | instskip(SKIP_1) | instid1(VALU_DEP_2)
	v_cmp_ne_u32_e32 vcc_lo, 0, v12
	s_wait_alu 0xfffd
	v_cndmask_b32_e32 v4, v16, v14, vcc_lo
	v_cndmask_b32_e32 v12, v15, v13, vcc_lo
	v_cmp_ne_u32_e32 vcc_lo, 0, v3
	s_wait_alu 0xfffd
	s_delay_alu instid0(VALU_DEP_3) | instskip(NEXT) | instid1(VALU_DEP_3)
	v_cndmask_b32_e32 v4, v11, v4, vcc_lo
	v_cndmask_b32_e32 v3, v8, v12, vcc_lo
.LBB0_4:                                ;   in Loop: Header=BB0_2 Depth=1
	s_wait_alu 0xfffe
	s_and_not1_saveexec_b32 s2, s30
	s_cbranch_execz .LBB0_6
; %bb.5:                                ;   in Loop: Header=BB0_2 Depth=1
	v_cvt_f32_u32_e32 v3, s28
	s_sub_co_i32 s30, 0, s28
	s_delay_alu instid0(VALU_DEP_1) | instskip(NEXT) | instid1(TRANS32_DEP_1)
	v_rcp_iflag_f32_e32 v3, v3
	v_mul_f32_e32 v3, 0x4f7ffffe, v3
	s_delay_alu instid0(VALU_DEP_1) | instskip(SKIP_1) | instid1(VALU_DEP_1)
	v_cvt_u32_f32_e32 v3, v3
	s_wait_alu 0xfffe
	v_mul_lo_u32 v4, s30, v3
	s_delay_alu instid0(VALU_DEP_1) | instskip(NEXT) | instid1(VALU_DEP_1)
	v_mul_hi_u32 v4, v3, v4
	v_add_nc_u32_e32 v3, v3, v4
	s_delay_alu instid0(VALU_DEP_1) | instskip(NEXT) | instid1(VALU_DEP_1)
	v_mul_hi_u32 v3, v9, v3
	v_mul_lo_u32 v4, v3, s28
	v_add_nc_u32_e32 v8, 1, v3
	s_delay_alu instid0(VALU_DEP_2) | instskip(NEXT) | instid1(VALU_DEP_1)
	v_sub_nc_u32_e32 v4, v9, v4
	v_subrev_nc_u32_e32 v11, s28, v4
	v_cmp_le_u32_e32 vcc_lo, s28, v4
	s_wait_alu 0xfffd
	s_delay_alu instid0(VALU_DEP_2) | instskip(NEXT) | instid1(VALU_DEP_1)
	v_dual_cndmask_b32 v4, v4, v11 :: v_dual_cndmask_b32 v3, v3, v8
	v_cmp_le_u32_e32 vcc_lo, s28, v4
	s_delay_alu instid0(VALU_DEP_2) | instskip(SKIP_2) | instid1(VALU_DEP_2)
	v_add_nc_u32_e32 v8, 1, v3
	v_mov_b32_e32 v4, v7
	s_wait_alu 0xfffd
	v_cndmask_b32_e32 v3, v3, v8, vcc_lo
.LBB0_6:                                ;   in Loop: Header=BB0_2 Depth=1
	s_wait_alu 0xfffe
	s_or_b32 exec_lo, exec_lo, s2
	v_mul_lo_u32 v8, v4, s28
	s_delay_alu instid0(VALU_DEP_2)
	v_mul_lo_u32 v13, v3, s29
	s_load_b64 s[30:31], s[22:23], 0x0
	v_mad_co_u64_u32 v[11:12], null, v3, s28, 0
	s_load_b64 s[28:29], s[20:21], 0x0
	s_add_nc_u64 s[24:25], s[24:25], 1
	s_add_nc_u64 s[20:21], s[20:21], 8
	s_wait_alu 0xfffe
	v_cmp_ge_u64_e64 s2, s[24:25], s[10:11]
	s_add_nc_u64 s[22:23], s[22:23], 8
	s_add_nc_u64 s[26:27], s[26:27], 8
	v_add3_u32 v8, v12, v13, v8
	v_sub_co_u32 v9, vcc_lo, v9, v11
	s_wait_alu 0xfffd
	s_delay_alu instid0(VALU_DEP_2) | instskip(SKIP_2) | instid1(VALU_DEP_1)
	v_sub_co_ci_u32_e32 v8, vcc_lo, v10, v8, vcc_lo
	s_and_b32 vcc_lo, exec_lo, s2
	s_wait_kmcnt 0x0
	v_mul_lo_u32 v10, s30, v8
	v_mul_lo_u32 v11, s31, v9
	v_mad_co_u64_u32 v[5:6], null, s30, v9, v[5:6]
	v_mul_lo_u32 v8, s28, v8
	v_mul_lo_u32 v12, s29, v9
	v_mad_co_u64_u32 v[1:2], null, s28, v9, v[1:2]
	s_delay_alu instid0(VALU_DEP_4) | instskip(NEXT) | instid1(VALU_DEP_2)
	v_add3_u32 v6, v11, v6, v10
	v_add3_u32 v2, v12, v2, v8
	s_wait_alu 0xfffe
	s_cbranch_vccnz .LBB0_9
; %bb.7:                                ;   in Loop: Header=BB0_2 Depth=1
	v_dual_mov_b32 v10, v4 :: v_dual_mov_b32 v9, v3
	s_branch .LBB0_2
.LBB0_8:
	v_dual_mov_b32 v1, v5 :: v_dual_mov_b32 v2, v6
	s_delay_alu instid0(VALU_DEP_2)
	v_dual_mov_b32 v3, v9 :: v_dual_mov_b32 v4, v10
.LBB0_9:
	s_load_b64 s[0:1], s[0:1], 0x28
	v_mul_hi_u32 v7, 0x10624de, v0
	s_lshl_b64 s[10:11], s[10:11], 3
                                        ; implicit-def: $sgpr2
                                        ; implicit-def: $vgpr28
	s_wait_kmcnt 0x0
	v_cmp_gt_u64_e32 vcc_lo, s[0:1], v[3:4]
	v_cmp_le_u64_e64 s0, s[0:1], v[3:4]
	s_delay_alu instid0(VALU_DEP_1)
	s_and_saveexec_b32 s1, s0
	s_wait_alu 0xfffe
	s_xor_b32 s0, exec_lo, s1
; %bb.10:
	v_mul_u32_u24_e32 v5, 0xfa, v7
	s_mov_b32 s2, 0
                                        ; implicit-def: $vgpr7
	s_delay_alu instid0(VALU_DEP_1)
	v_sub_nc_u32_e32 v28, v0, v5
                                        ; implicit-def: $vgpr0
                                        ; implicit-def: $vgpr5_vgpr6
; %bb.11:
	s_wait_alu 0xfffe
	s_or_saveexec_b32 s1, s0
	v_mov_b32_e32 v27, s2
	s_add_nc_u64 s[2:3], s[14:15], s[10:11]
                                        ; implicit-def: $vgpr20
                                        ; implicit-def: $vgpr22
                                        ; implicit-def: $vgpr26
                                        ; implicit-def: $vgpr24
                                        ; implicit-def: $vgpr10
	s_wait_alu 0xfffe
	s_xor_b32 exec_lo, exec_lo, s1
	s_cbranch_execz .LBB0_13
; %bb.12:
	s_add_nc_u64 s[10:11], s[12:13], s[10:11]
	v_mul_u32_u24_e32 v7, 0xfa, v7
	s_load_b64 s[10:11], s[10:11], 0x0
	v_lshlrev_b64_e32 v[5:6], 3, v[5:6]
	s_delay_alu instid0(VALU_DEP_2) | instskip(NEXT) | instid1(VALU_DEP_1)
	v_sub_nc_u32_e32 v28, v0, v7
	v_mad_co_u64_u32 v[7:8], null, s18, v28, 0
	v_add_nc_u32_e32 v21, 0xfa, v28
	v_dual_mov_b32 v27, v28 :: v_dual_add_nc_u32 v22, 0x1f4, v28
	v_add_nc_u32_e32 v24, 0x3e8, v28
	s_delay_alu instid0(VALU_DEP_2)
	v_mad_co_u64_u32 v[11:12], null, s18, v22, 0
	v_mov_b32_e32 v0, v8
	v_mad_co_u64_u32 v[9:10], null, s18, v21, 0
	s_wait_kmcnt 0x0
	v_mul_lo_u32 v8, s11, v3
	v_mul_lo_u32 v25, s10, v4
	v_mad_co_u64_u32 v[15:16], null, s10, v3, 0
	v_add_nc_u32_e32 v23, 0x2ee, v28
	v_mad_co_u64_u32 v[19:20], null, s19, v28, v[0:1]
	v_mov_b32_e32 v0, v10
	v_mad_co_u64_u32 v[17:18], null, s18, v24, 0
	s_delay_alu instid0(VALU_DEP_4) | instskip(SKIP_4) | instid1(VALU_DEP_4)
	v_mad_co_u64_u32 v[13:14], null, s18, v23, 0
	v_add3_u32 v16, v16, v25, v8
	v_mov_b32_e32 v10, v12
	v_mad_co_u64_u32 v[20:21], null, s19, v21, v[0:1]
	v_mov_b32_e32 v8, v19
	v_lshlrev_b64_e32 v[15:16], 3, v[15:16]
	v_mov_b32_e32 v12, v14
	v_mov_b32_e32 v14, v18
	v_mad_co_u64_u32 v[18:19], null, s19, v22, v[10:11]
	v_lshlrev_b64_e32 v[7:8], 3, v[7:8]
	v_add_co_u32 v0, s0, s4, v15
	v_mad_co_u64_u32 v[21:22], null, s19, v23, v[12:13]
	s_wait_alu 0xf1ff
	v_add_co_ci_u32_e64 v12, s0, s5, v16, s0
	s_delay_alu instid0(VALU_DEP_3) | instskip(SKIP_2) | instid1(VALU_DEP_3)
	v_add_co_u32 v0, s0, v0, v5
	v_mov_b32_e32 v10, v20
	s_wait_alu 0xf1ff
	v_add_co_ci_u32_e64 v19, s0, v12, v6, s0
	s_delay_alu instid0(VALU_DEP_3) | instskip(SKIP_2) | instid1(VALU_DEP_3)
	v_add_co_u32 v5, s0, v0, v7
	v_mov_b32_e32 v12, v18
	s_wait_alu 0xf1ff
	v_add_co_ci_u32_e64 v6, s0, v19, v8, s0
	v_lshlrev_b64_e32 v[7:8], 3, v[9:10]
	v_mad_co_u64_u32 v[9:10], null, s19, v24, v[14:15]
	v_mov_b32_e32 v14, v21
	v_lshlrev_b64_e32 v[10:11], 3, v[11:12]
	s_delay_alu instid0(VALU_DEP_4) | instskip(NEXT) | instid1(VALU_DEP_3)
	v_add_co_u32 v7, s0, v0, v7
	v_lshlrev_b64_e32 v[12:13], 3, v[13:14]
	v_mov_b32_e32 v18, v9
	s_wait_alu 0xf1ff
	v_add_co_ci_u32_e64 v8, s0, v19, v8, s0
	v_add_co_u32 v14, s0, v0, v10
	s_delay_alu instid0(VALU_DEP_3)
	v_lshlrev_b64_e32 v[9:10], 3, v[17:18]
	s_wait_alu 0xf1ff
	v_add_co_ci_u32_e64 v15, s0, v19, v11, s0
	v_add_co_u32 v11, s0, v0, v12
	s_wait_alu 0xf1ff
	v_add_co_ci_u32_e64 v12, s0, v19, v13, s0
	v_add_co_u32 v16, s0, v0, v9
	s_wait_alu 0xf1ff
	v_add_co_ci_u32_e64 v17, s0, v19, v10, s0
	s_clause 0x4
	global_load_b64 v[9:10], v[5:6], off
	global_load_b64 v[23:24], v[7:8], off
	;; [unrolled: 1-line block ×5, first 2 shown]
.LBB0_13:
	s_or_b32 exec_lo, exec_lo, s1
	s_wait_loadcnt 0x0
	v_dual_add_f32 v0, v21, v25 :: v_dual_add_f32 v7, v19, v23
	v_dual_add_f32 v5, v23, v9 :: v_dual_sub_f32 v6, v24, v20
	s_load_b64 s[2:3], s[2:3], 0x0
	s_delay_alu instid0(VALU_DEP_2) | instskip(NEXT) | instid1(VALU_DEP_2)
	v_fma_f32 v11, -0.5, v0, v9
	v_dual_sub_f32 v0, v26, v22 :: v_dual_add_f32 v5, v25, v5
	v_dual_sub_f32 v12, v23, v25 :: v_dual_fmac_f32 v9, -0.5, v7
	s_delay_alu instid0(VALU_DEP_3) | instskip(SKIP_2) | instid1(VALU_DEP_4)
	v_dual_fmamk_f32 v8, v6, 0x3f737871, v11 :: v_dual_sub_f32 v7, v19, v21
	v_sub_f32_e32 v14, v25, v23
	v_sub_f32_e32 v15, v21, v19
	v_fmamk_f32 v13, v0, 0xbf737871, v9
	s_delay_alu instid0(VALU_DEP_4) | instskip(NEXT) | instid1(VALU_DEP_3)
	v_dual_fmac_f32 v11, 0xbf737871, v6 :: v_dual_add_f32 v12, v7, v12
	v_dual_fmac_f32 v9, 0x3f737871, v0 :: v_dual_add_f32 v14, v15, v14
	v_dual_add_f32 v5, v21, v5 :: v_dual_fmac_f32 v8, 0x3f167918, v0
	s_delay_alu instid0(VALU_DEP_4) | instskip(NEXT) | instid1(VALU_DEP_3)
	v_fmac_f32_e32 v13, 0x3f167918, v6
	v_fmac_f32_e32 v9, 0xbf167918, v6
	v_fmac_f32_e32 v11, 0xbf167918, v0
	s_delay_alu instid0(VALU_DEP_4) | instskip(NEXT) | instid1(VALU_DEP_4)
	v_dual_add_f32 v7, v19, v5 :: v_dual_fmac_f32 v8, 0x3e9e377a, v12
	v_fmac_f32_e32 v13, 0x3e9e377a, v14
	v_mad_u32_u24 v0, v28, 20, 0
	v_fmac_f32_e32 v9, 0x3e9e377a, v14
	v_fmac_f32_e32 v11, 0x3e9e377a, v12
	v_cmp_gt_u32_e64 s0, 0x7d, v28
	v_lshlrev_b32_e32 v29, 4, v28
	ds_store_2addr_b32 v0, v7, v8 offset1:1
	ds_store_2addr_b32 v0, v13, v9 offset0:2 offset1:3
	ds_store_b32 v0, v11 offset:16
	global_wb scope:SCOPE_SE
	s_wait_dscnt 0x0
	s_wait_kmcnt 0x0
	s_barrier_signal -1
	s_barrier_wait -1
	global_inv scope:SCOPE_SE
                                        ; implicit-def: $vgpr16
                                        ; implicit-def: $vgpr18
	s_and_saveexec_b32 s1, s0
	s_cbranch_execz .LBB0_15
; %bb.14:
	v_sub_nc_u32_e32 v5, v0, v29
	s_delay_alu instid0(VALU_DEP_1)
	v_add_nc_u32_e32 v6, 0x200, v5
	v_add_nc_u32_e32 v9, 0x600, v5
	;; [unrolled: 1-line block ×3, first 2 shown]
	ds_load_2addr_b32 v[13:14], v6 offset0:122 offset1:247
	v_add_nc_u32_e32 v6, 0xe00, v5
	ds_load_2addr_b32 v[7:8], v5 offset1:125
	ds_load_2addr_b32 v[11:12], v9 offset0:116 offset1:241
	ds_load_2addr_b32 v[17:18], v15 offset0:110 offset1:235
	;; [unrolled: 1-line block ×3, first 2 shown]
	s_wait_dscnt 0x4
	v_mov_b32_e32 v9, v14
.LBB0_15:
	s_wait_alu 0xfffe
	s_or_b32 exec_lo, exec_lo, s1
	v_dual_add_f32 v5, v22, v26 :: v_dual_sub_f32 v14, v23, v19
	v_dual_add_f32 v6, v24, v10 :: v_dual_sub_f32 v23, v25, v21
	global_wb scope:SCOPE_SE
	s_wait_dscnt 0x0
	v_fma_f32 v19, -0.5, v5, v10
	v_add_f32_e32 v21, v20, v24
	v_add_f32_e32 v25, v26, v6
	s_barrier_signal -1
	s_barrier_wait -1
	v_dual_fmamk_f32 v6, v14, 0xbf737871, v19 :: v_dual_sub_f32 v5, v24, v26
	v_fmac_f32_e32 v10, -0.5, v21
	v_dual_sub_f32 v24, v26, v24 :: v_dual_fmac_f32 v19, 0x3f737871, v14
	s_delay_alu instid0(VALU_DEP_3) | instskip(SKIP_1) | instid1(VALU_DEP_4)
	v_fmac_f32_e32 v6, 0xbf167918, v23
	v_dual_sub_f32 v30, v20, v22 :: v_dual_add_f32 v25, v22, v25
	v_dual_fmamk_f32 v21, v23, 0x3f737871, v10 :: v_dual_sub_f32 v22, v22, v20
	v_fmac_f32_e32 v10, 0xbf737871, v23
	s_delay_alu instid0(VALU_DEP_3) | instskip(NEXT) | instid1(VALU_DEP_3)
	v_dual_add_f32 v26, v30, v5 :: v_dual_fmac_f32 v19, 0x3f167918, v23
	v_dual_fmac_f32 v21, 0xbf167918, v14 :: v_dual_add_f32 v22, v22, v24
	s_delay_alu instid0(VALU_DEP_3) | instskip(NEXT) | instid1(VALU_DEP_3)
	v_dual_add_f32 v5, v20, v25 :: v_dual_fmac_f32 v10, 0x3f167918, v14
	v_fmac_f32_e32 v6, 0x3e9e377a, v26
	s_delay_alu instid0(VALU_DEP_4) | instskip(NEXT) | instid1(VALU_DEP_4)
	v_fmac_f32_e32 v19, 0x3e9e377a, v26
	v_fmac_f32_e32 v21, 0x3e9e377a, v22
	global_inv scope:SCOPE_SE
	v_fmac_f32_e32 v10, 0x3e9e377a, v22
	ds_store_2addr_b32 v0, v5, v6 offset1:1
	ds_store_2addr_b32 v0, v21, v10 offset0:2 offset1:3
	ds_store_b32 v0, v19 offset:16
	global_wb scope:SCOPE_SE
	s_wait_dscnt 0x0
	s_barrier_signal -1
	s_barrier_wait -1
	global_inv scope:SCOPE_SE
                                        ; implicit-def: $vgpr24
                                        ; implicit-def: $vgpr26
	s_and_saveexec_b32 s1, s0
	s_cbranch_execz .LBB0_17
; %bb.16:
	v_sub_nc_u32_e32 v0, v0, v29
	s_delay_alu instid0(VALU_DEP_1)
	v_add_nc_u32_e32 v5, 0x200, v0
	v_add_nc_u32_e32 v10, 0x600, v0
	;; [unrolled: 1-line block ×4, first 2 shown]
	ds_load_2addr_b32 v[21:22], v5 offset0:122 offset1:247
	ds_load_2addr_b32 v[5:6], v0 offset1:125
	ds_load_2addr_b32 v[19:20], v10 offset0:116 offset1:241
	ds_load_2addr_b32 v[25:26], v14 offset0:110 offset1:235
	;; [unrolled: 1-line block ×3, first 2 shown]
	s_wait_dscnt 0x4
	v_mov_b32_e32 v10, v22
.LBB0_17:
	s_wait_alu 0xfffe
	s_or_b32 exec_lo, exec_lo, s1
	v_and_b32_e32 v0, 0xff, v28
	s_delay_alu instid0(VALU_DEP_1) | instskip(NEXT) | instid1(VALU_DEP_1)
	v_mul_lo_u16 v14, 0xcd, v0
	v_lshrrev_b16 v14, 10, v14
	s_delay_alu instid0(VALU_DEP_1) | instskip(NEXT) | instid1(VALU_DEP_1)
	v_mul_lo_u16 v22, v14, 5
	v_sub_nc_u16 v22, v28, v22
	s_delay_alu instid0(VALU_DEP_1) | instskip(NEXT) | instid1(VALU_DEP_1)
	v_and_b32_e32 v56, 0xff, v22
	v_mul_u32_u24_e32 v22, 9, v56
	s_delay_alu instid0(VALU_DEP_1)
	v_lshlrev_b32_e32 v22, 3, v22
	s_clause 0x4
	global_load_b128 v[38:41], v22, s[8:9]
	global_load_b128 v[42:45], v22, s[8:9] offset:16
	global_load_b128 v[46:49], v22, s[8:9] offset:32
	global_load_b128 v[50:53], v22, s[8:9] offset:48
	global_load_b64 v[54:55], v22, s[8:9] offset:64
	v_and_b32_e32 v14, 0xffff, v14
	global_wb scope:SCOPE_SE
	s_wait_loadcnt_dscnt 0x0
	s_barrier_signal -1
	s_barrier_wait -1
	global_inv scope:SCOPE_SE
	v_mul_f32_e32 v37, v6, v39
	v_mul_f32_e32 v29, v8, v39
	;; [unrolled: 1-line block ×3, first 2 shown]
	v_dual_mul_f32 v30, v13, v41 :: v_dual_mul_f32 v41, v10, v43
	v_dual_mul_f32 v33, v9, v43 :: v_dual_mul_f32 v34, v11, v45
	;; [unrolled: 1-line block ×3, first 2 shown]
	v_mul_f32_e32 v45, v20, v47
	v_dual_mul_f32 v47, v25, v49 :: v_dual_mul_f32 v22, v16, v55
	s_delay_alu instid0(VALU_DEP_4) | instskip(SKIP_3) | instid1(VALU_DEP_3)
	v_dual_mul_f32 v35, v17, v49 :: v_dual_fmac_f32 v34, v19, v44
	v_dual_mul_f32 v49, v26, v51 :: v_dual_mul_f32 v36, v15, v53
	v_dual_mul_f32 v31, v18, v51 :: v_dual_fmac_f32 v30, v21, v40
	v_dual_mul_f32 v51, v23, v53 :: v_dual_fmac_f32 v32, v20, v46
	;; [unrolled: 1-line block ×3, first 2 shown]
	v_fma_f32 v39, v13, v40, -v39
	v_fma_f32 v40, v9, v42, -v41
	v_dual_fmac_f32 v35, v25, v48 :: v_dual_fmac_f32 v22, v24, v54
	s_delay_alu instid0(VALU_DEP_4) | instskip(SKIP_3) | instid1(VALU_DEP_4)
	v_fma_f32 v9, v16, v54, -v53
	v_fma_f32 v8, v8, v38, -v37
	;; [unrolled: 1-line block ×4, first 2 shown]
	v_sub_f32_e32 v25, v40, v9
	v_fmac_f32_e32 v31, v26, v50
	v_fmac_f32_e32 v29, v6, v38
	v_fma_f32 v6, v18, v50, -v49
	v_fma_f32 v38, v17, v48, -v47
	v_add_f32_e32 v17, v40, v9
	v_sub_f32_e32 v20, v32, v31
	v_sub_f32_e32 v44, v31, v22
	v_fmac_f32_e32 v33, v10, v42
	v_fma_f32 v10, v12, v46, -v45
	v_dual_sub_f32 v16, v9, v6 :: v_dual_add_f32 v21, v32, v31
	s_delay_alu instid0(VALU_DEP_3) | instskip(NEXT) | instid1(VALU_DEP_3)
	v_dual_sub_f32 v19, v6, v9 :: v_dual_add_f32 v42, v33, v22
	v_sub_f32_e32 v26, v10, v6
	v_add_f32_e32 v11, v10, v6
	v_dual_sub_f32 v15, v40, v10 :: v_dual_sub_f32 v18, v10, v40
	v_sub_f32_e32 v43, v32, v33
	s_delay_alu instid0(VALU_DEP_3) | instskip(NEXT) | instid1(VALU_DEP_3)
	v_fma_f32 v13, -0.5, v11, v8
	v_add_f32_e32 v11, v15, v16
	v_fma_f32 v15, -0.5, v17, v8
	v_fma_f32 v16, -0.5, v21, v29
	;; [unrolled: 1-line block ×3, first 2 shown]
	v_add_f32_e32 v42, v43, v44
	v_dual_sub_f32 v12, v33, v22 :: v_dual_add_f32 v45, v18, v19
	s_delay_alu instid0(VALU_DEP_4)
	v_fmamk_f32 v18, v25, 0xbf737871, v16
	v_dual_sub_f32 v23, v33, v32 :: v_dual_fmac_f32 v16, 0x3f737871, v25
	v_sub_f32_e32 v41, v22, v31
	v_fmamk_f32 v21, v20, 0xbf737871, v15
	v_fmac_f32_e32 v15, 0x3f737871, v20
	v_fmamk_f32 v19, v26, 0x3f737871, v17
	v_fmac_f32_e32 v16, 0x3f167918, v26
	v_fmac_f32_e32 v17, 0xbf737871, v26
	v_dual_fmac_f32 v18, 0xbf167918, v26 :: v_dual_add_f32 v41, v23, v41
	v_fmamk_f32 v23, v12, 0x3f737871, v13
	v_fmac_f32_e32 v13, 0xbf737871, v12
	v_fmac_f32_e32 v21, 0x3f167918, v12
	;; [unrolled: 1-line block ×9, first 2 shown]
	v_dual_fmac_f32 v18, 0x3e9e377a, v41 :: v_dual_fmac_f32 v23, 0x3e9e377a, v11
	v_dual_fmac_f32 v16, 0x3e9e377a, v41 :: v_dual_fmac_f32 v13, 0x3e9e377a, v11
	v_fmac_f32_e32 v19, 0x3e9e377a, v42
	v_dual_fmac_f32 v17, 0x3e9e377a, v42 :: v_dual_lshlrev_b32 v20, 2, v56
	s_and_saveexec_b32 s1, s0
	s_cbranch_execz .LBB0_19
; %bb.18:
	v_dual_add_f32 v11, v37, v38 :: v_dual_sub_f32 v12, v39, v37
	v_dual_sub_f32 v25, v24, v38 :: v_dual_sub_f32 v26, v30, v36
	v_dual_add_f32 v41, v39, v24 :: v_dual_sub_f32 v42, v34, v35
	s_delay_alu instid0(VALU_DEP_3) | instskip(SKIP_1) | instid1(VALU_DEP_3)
	v_fma_f32 v11, -0.5, v11, v7
	v_dual_mul_f32 v43, 0x3f4f1bbd, v13 :: v_dual_sub_f32 v44, v37, v39
	v_fma_f32 v41, -0.5, v41, v7
	s_delay_alu instid0(VALU_DEP_3) | instskip(SKIP_1) | instid1(VALU_DEP_3)
	v_dual_add_f32 v12, v12, v25 :: v_dual_fmamk_f32 v45, v26, 0xbf737871, v11
	v_dual_sub_f32 v46, v38, v24 :: v_dual_mul_f32 v47, 0x3e9e377a, v15
	v_dual_fmamk_f32 v25, v42, 0x3f737871, v41 :: v_dual_add_f32 v8, v8, v40
	s_delay_alu instid0(VALU_DEP_3) | instskip(SKIP_1) | instid1(VALU_DEP_4)
	v_fmac_f32_e32 v45, 0xbf167918, v42
	v_fma_f32 v43, 0x3f167918, v16, -v43
	v_add_f32_e32 v44, v44, v46
	v_fma_f32 v46, 0x3f737871, v17, -v47
	s_delay_alu instid0(VALU_DEP_4) | instskip(SKIP_3) | instid1(VALU_DEP_4)
	v_dual_add_f32 v8, v8, v10 :: v_dual_fmac_f32 v45, 0x3e9e377a, v12
	v_add_f32_e32 v7, v7, v39
	v_fmac_f32_e32 v11, 0x3f737871, v26
	v_fmac_f32_e32 v41, 0xbf737871, v42
	v_add_f32_e32 v6, v8, v6
	v_dual_sub_f32 v40, v45, v43 :: v_dual_fmac_f32 v25, 0xbf167918, v26
	v_dual_add_f32 v7, v7, v37 :: v_dual_mul_f32 v10, 0x3f737871, v19
	v_fmac_f32_e32 v11, 0x3f167918, v42
	v_mul_f32_e32 v8, 0x3f167918, v18
	s_delay_alu instid0(VALU_DEP_4) | instskip(NEXT) | instid1(VALU_DEP_4)
	v_dual_add_f32 v6, v6, v9 :: v_dual_fmac_f32 v25, 0x3e9e377a, v44
	v_dual_fmac_f32 v10, 0x3e9e377a, v21 :: v_dual_add_f32 v7, v7, v38
	s_delay_alu instid0(VALU_DEP_3) | instskip(NEXT) | instid1(VALU_DEP_3)
	v_fmac_f32_e32 v8, 0x3f4f1bbd, v23
	v_dual_fmac_f32 v11, 0x3e9e377a, v12 :: v_dual_add_f32 v42, v25, v46
	v_fmac_f32_e32 v41, 0x3f167918, v26
	s_delay_alu instid0(VALU_DEP_4) | instskip(SKIP_1) | instid1(VALU_DEP_2)
	v_add_f32_e32 v7, v7, v24
	v_mul_u32_u24_e32 v12, 0xc8, v14
	v_dual_fmac_f32 v41, 0x3e9e377a, v44 :: v_dual_sub_f32 v26, v7, v6
	v_add_f32_e32 v44, v11, v8
	v_add_f32_e32 v6, v7, v6
	s_delay_alu instid0(VALU_DEP_4) | instskip(NEXT) | instid1(VALU_DEP_4)
	v_add3_u32 v7, 0, v12, v20
	v_dual_sub_f32 v9, v41, v10 :: v_dual_sub_f32 v8, v11, v8
	v_add_f32_e32 v10, v41, v10
	v_add_f32_e32 v12, v45, v43
	v_sub_f32_e32 v11, v25, v46
	ds_store_2addr_b32 v7, v6, v44 offset1:5
	ds_store_2addr_b32 v7, v10, v42 offset0:10 offset1:15
	ds_store_2addr_b32 v7, v12, v26 offset0:20 offset1:25
	ds_store_2addr_b32 v7, v8, v9 offset0:30 offset1:35
	ds_store_2addr_b32 v7, v11, v40 offset0:40 offset1:45
.LBB0_19:
	s_wait_alu 0xfffe
	s_or_b32 exec_lo, exec_lo, s1
	v_lshl_add_u32 v10, v28, 2, 0
	global_wb scope:SCOPE_SE
	s_wait_dscnt 0x0
	s_barrier_signal -1
	s_barrier_wait -1
	global_inv scope:SCOPE_SE
	v_add_nc_u32_e32 v11, 0x7c0, v10
	ds_load_2addr_b32 v[6:7], v10 offset1:250
	ds_load_2addr_b32 v[8:9], v11 offset0:4 offset1:254
	ds_load_b32 v12, v10 offset:4000
	global_wb scope:SCOPE_SE
	s_wait_dscnt 0x0
	s_barrier_signal -1
	s_barrier_wait -1
	global_inv scope:SCOPE_SE
	s_and_saveexec_b32 s1, s0
	s_cbranch_execz .LBB0_21
; %bb.20:
	v_dual_add_f32 v25, v5, v30 :: v_dual_add_f32 v26, v34, v35
	v_dual_sub_f32 v24, v39, v24 :: v_dual_sub_f32 v39, v30, v34
	v_mul_u32_u24_e32 v14, 0xc8, v14
	s_delay_alu instid0(VALU_DEP_3) | instskip(NEXT) | instid1(VALU_DEP_4)
	v_dual_add_f32 v25, v25, v34 :: v_dual_add_f32 v40, v30, v36
	v_fma_f32 v26, -0.5, v26, v5
	v_sub_f32_e32 v41, v36, v35
	v_sub_f32_e32 v37, v37, v38
	s_delay_alu instid0(VALU_DEP_4) | instskip(NEXT) | instid1(VALU_DEP_4)
	v_dual_sub_f32 v30, v34, v30 :: v_dual_fmac_f32 v5, -0.5, v40
	v_dual_fmamk_f32 v38, v24, 0xbf737871, v26 :: v_dual_add_f32 v25, v25, v35
	s_delay_alu instid0(VALU_DEP_4) | instskip(NEXT) | instid1(VALU_DEP_3)
	v_dual_fmac_f32 v26, 0x3f737871, v24 :: v_dual_add_f32 v39, v39, v41
	v_fmamk_f32 v40, v37, 0x3f737871, v5
	s_delay_alu instid0(VALU_DEP_3) | instskip(SKIP_4) | instid1(VALU_DEP_4)
	v_fmac_f32_e32 v38, 0xbf167918, v37
	v_add_f32_e32 v29, v29, v33
	v_sub_f32_e32 v33, v35, v36
	v_dual_add_f32 v25, v25, v36 :: v_dual_fmac_f32 v26, 0x3f167918, v37
	v_fmac_f32_e32 v40, 0xbf167918, v24
	v_dual_fmac_f32 v38, 0x3e9e377a, v39 :: v_dual_add_f32 v29, v29, v32
	s_delay_alu instid0(VALU_DEP_4) | instskip(SKIP_3) | instid1(VALU_DEP_4)
	v_add_f32_e32 v30, v30, v33
	v_fmac_f32_e32 v5, 0xbf737871, v37
	v_mul_f32_e32 v17, 0x3e9e377a, v17
	v_add3_u32 v14, 0, v14, v20
	v_fmac_f32_e32 v40, 0x3e9e377a, v30
	s_delay_alu instid0(VALU_DEP_4) | instskip(NEXT) | instid1(VALU_DEP_4)
	v_dual_fmac_f32 v5, 0x3f167918, v24 :: v_dual_add_f32 v24, v29, v31
	v_fma_f32 v15, 0xbf737871, v15, -v17
	s_delay_alu instid0(VALU_DEP_2) | instskip(SKIP_1) | instid1(VALU_DEP_4)
	v_dual_add_f32 v22, v24, v22 :: v_dual_mul_f32 v23, 0xbf167918, v23
	v_mul_f32_e32 v16, 0x3f4f1bbd, v16
	v_dual_fmac_f32 v26, 0x3e9e377a, v39 :: v_dual_fmac_f32 v5, 0x3e9e377a, v30
	s_delay_alu instid0(VALU_DEP_3) | instskip(SKIP_1) | instid1(VALU_DEP_4)
	v_fmac_f32_e32 v23, 0x3f4f1bbd, v18
	v_mul_f32_e32 v21, 0xbf737871, v21
	v_fma_f32 v13, 0xbf167918, v13, -v16
	v_add_f32_e32 v18, v25, v22
	v_sub_f32_e32 v22, v25, v22
	v_add_f32_e32 v16, v38, v23
	s_delay_alu instid0(VALU_DEP_4) | instskip(SKIP_3) | instid1(VALU_DEP_4)
	v_dual_fmac_f32 v21, 0x3e9e377a, v19 :: v_dual_add_f32 v24, v26, v13
	v_add_f32_e32 v19, v5, v15
	v_sub_f32_e32 v20, v38, v23
	v_sub_f32_e32 v5, v5, v15
	v_add_f32_e32 v17, v40, v21
	v_sub_f32_e32 v21, v40, v21
	v_sub_f32_e32 v13, v26, v13
	ds_store_2addr_b32 v14, v18, v16 offset1:5
	ds_store_2addr_b32 v14, v17, v19 offset0:10 offset1:15
	ds_store_2addr_b32 v14, v24, v22 offset0:20 offset1:25
	;; [unrolled: 1-line block ×4, first 2 shown]
.LBB0_21:
	s_wait_alu 0xfffe
	s_or_b32 exec_lo, exec_lo, s1
	v_mul_lo_u16 v0, v0, 41
	global_wb scope:SCOPE_SE
	s_wait_dscnt 0x0
	s_barrier_signal -1
	s_barrier_wait -1
	global_inv scope:SCOPE_SE
	v_lshrrev_b16 v0, 11, v0
	s_delay_alu instid0(VALU_DEP_1) | instskip(NEXT) | instid1(VALU_DEP_1)
	v_mul_lo_u16 v5, v0, 50
	v_sub_nc_u16 v5, v28, v5
	s_delay_alu instid0(VALU_DEP_1) | instskip(NEXT) | instid1(VALU_DEP_1)
	v_and_b32_e32 v5, 0xff, v5
	v_lshlrev_b32_e32 v17, 5, v5
	s_clause 0x1
	global_load_b128 v[13:16], v17, s[8:9] offset:360
	global_load_b128 v[17:20], v17, s[8:9] offset:376
	ds_load_2addr_b32 v[21:22], v10 offset1:250
	ds_load_2addr_b32 v[23:24], v11 offset0:4 offset1:254
	ds_load_b32 v25, v10 offset:4000
	v_and_b32_e32 v0, 0xffff, v0
	v_lshlrev_b32_e32 v5, 2, v5
	global_wb scope:SCOPE_SE
	s_wait_loadcnt_dscnt 0x0
	s_barrier_signal -1
	s_barrier_wait -1
	v_mul_u32_u24_e32 v0, 0x3e8, v0
	global_inv scope:SCOPE_SE
	v_add3_u32 v26, 0, v0, v5
	v_mul_f32_e32 v0, v22, v14
	v_mul_f32_e32 v5, v7, v14
	;; [unrolled: 1-line block ×4, first 2 shown]
	v_dual_mul_f32 v29, v24, v18 :: v_dual_mul_f32 v30, v25, v20
	s_delay_alu instid0(VALU_DEP_4)
	v_dual_mul_f32 v18, v9, v18 :: v_dual_fmac_f32 v5, v22, v13
	v_mul_f32_e32 v20, v12, v20
	v_fma_f32 v0, v7, v13, -v0
	v_fma_f32 v7, v8, v15, -v14
	;; [unrolled: 1-line block ×4, first 2 shown]
	v_fmac_f32_e32 v16, v23, v15
	v_fmac_f32_e32 v20, v25, v19
	v_dual_fmac_f32 v18, v24, v17 :: v_dual_sub_f32 v23, v7, v0
	v_add_f32_e32 v13, v7, v8
	v_sub_f32_e32 v19, v9, v8
	s_delay_alu instid0(VALU_DEP_3)
	v_dual_add_f32 v12, v6, v0 :: v_dual_sub_f32 v15, v16, v18
	v_dual_add_f32 v22, v0, v9 :: v_dual_sub_f32 v31, v5, v16
	v_dual_sub_f32 v14, v5, v20 :: v_dual_sub_f32 v17, v0, v7
	v_dual_sub_f32 v24, v8, v9 :: v_dual_add_f32 v33, v5, v20
	v_add_f32_e32 v25, v21, v5
	v_add_f32_e32 v29, v16, v18
	v_dual_sub_f32 v30, v0, v9 :: v_dual_sub_f32 v35, v18, v20
	v_sub_f32_e32 v0, v7, v8
	v_sub_f32_e32 v32, v20, v18
	;; [unrolled: 1-line block ×3, first 2 shown]
	v_add_f32_e32 v5, v12, v7
	v_fma_f32 v7, -0.5, v13, v6
	v_fmac_f32_e32 v6, -0.5, v22
	v_add_f32_e32 v12, v17, v19
	v_add_f32_e32 v16, v25, v16
	v_fma_f32 v17, -0.5, v29, v21
	v_dual_add_f32 v5, v5, v8 :: v_dual_fmamk_f32 v8, v14, 0x3f737871, v7
	v_fmac_f32_e32 v21, -0.5, v33
	v_dual_fmac_f32 v7, 0xbf737871, v14 :: v_dual_fmamk_f32 v22, v15, 0xbf737871, v6
	v_fmac_f32_e32 v6, 0x3f737871, v15
	v_add_f32_e32 v16, v16, v18
	v_dual_fmamk_f32 v18, v30, 0xbf737871, v17 :: v_dual_add_f32 v5, v5, v9
	v_fmac_f32_e32 v17, 0x3f737871, v30
	v_dual_fmac_f32 v8, 0x3f167918, v15 :: v_dual_add_f32 v13, v23, v24
	v_add_f32_e32 v19, v31, v32
	v_fmamk_f32 v23, v0, 0x3f737871, v21
	s_delay_alu instid0(VALU_DEP_4) | instskip(SKIP_3) | instid1(VALU_DEP_4)
	v_fmac_f32_e32 v17, 0x3f167918, v0
	v_fmac_f32_e32 v21, 0xbf737871, v0
	v_dual_fmac_f32 v22, 0x3f167918, v14 :: v_dual_add_f32 v9, v34, v35
	v_dual_fmac_f32 v7, 0xbf167918, v15 :: v_dual_fmac_f32 v6, 0xbf167918, v14
	v_dual_fmac_f32 v8, 0x3e9e377a, v12 :: v_dual_fmac_f32 v17, 0x3e9e377a, v19
	s_delay_alu instid0(VALU_DEP_2) | instskip(NEXT) | instid1(VALU_DEP_3)
	v_dual_fmac_f32 v22, 0x3e9e377a, v13 :: v_dual_fmac_f32 v7, 0x3e9e377a, v12
	v_fmac_f32_e32 v6, 0x3e9e377a, v13
	v_dual_fmac_f32 v18, 0xbf167918, v0 :: v_dual_fmac_f32 v23, 0xbf167918, v30
	ds_store_2addr_b32 v26, v5, v8 offset1:50
	ds_store_2addr_b32 v26, v22, v6 offset0:100 offset1:150
	ds_store_b32 v26, v7 offset:800
	global_wb scope:SCOPE_SE
	s_wait_dscnt 0x0
	s_barrier_signal -1
	s_barrier_wait -1
	global_inv scope:SCOPE_SE
	ds_load_2addr_b32 v[5:6], v10 offset1:250
	ds_load_2addr_b32 v[7:8], v11 offset0:4 offset1:254
	ds_load_b32 v0, v10 offset:4000
	v_fmac_f32_e32 v21, 0x3f167918, v30
	v_dual_add_f32 v11, v16, v20 :: v_dual_fmac_f32 v18, 0x3e9e377a, v19
	v_fmac_f32_e32 v23, 0x3e9e377a, v9
	global_wb scope:SCOPE_SE
	s_wait_dscnt 0x0
	v_fmac_f32_e32 v21, 0x3e9e377a, v9
	s_barrier_signal -1
	s_barrier_wait -1
	global_inv scope:SCOPE_SE
	ds_store_2addr_b32 v26, v11, v18 offset1:50
	ds_store_2addr_b32 v26, v23, v21 offset0:100 offset1:150
	ds_store_b32 v26, v17 offset:800
	global_wb scope:SCOPE_SE
	s_wait_dscnt 0x0
	s_barrier_signal -1
	s_barrier_wait -1
	global_inv scope:SCOPE_SE
	s_and_saveexec_b32 s0, vcc_lo
	s_cbranch_execz .LBB0_23
; %bb.22:
	v_dual_mov_b32 v12, 0 :: v_dual_lshlrev_b32 v11, 2, v28
	v_add_nc_u32_e32 v30, 0x7c0, v10
	v_mul_lo_u32 v28, s3, v3
	v_mul_lo_u32 v29, s2, v4
	v_mad_co_u64_u32 v[3:4], null, s2, v3, 0
	v_lshlrev_b64_e32 v[11:12], 3, v[11:12]
	v_lshlrev_b64_e32 v[1:2], 3, v[1:2]
	s_delay_alu instid0(VALU_DEP_3) | instskip(NEXT) | instid1(VALU_DEP_3)
	v_add3_u32 v4, v4, v29, v28
	v_add_co_u32 v15, vcc_lo, s8, v11
	s_wait_alu 0xfffd
	s_delay_alu instid0(VALU_DEP_4)
	v_add_co_ci_u32_e32 v16, vcc_lo, s9, v12, vcc_lo
	s_clause 0x1
	global_load_b128 v[11:14], v[15:16], off offset:1960
	global_load_b128 v[15:18], v[15:16], off offset:1976
	v_add_nc_u32_e32 v34, 0xfa, v27
	ds_load_2addr_b32 v[19:20], v10 offset1:250
	ds_load_b32 v38, v10 offset:4000
	v_mad_co_u64_u32 v[9:10], null, s16, v27, 0
	v_add_nc_u32_e32 v36, 0x2ee, v27
	v_mad_co_u64_u32 v[21:22], null, s16, v34, 0
	v_add_nc_u32_e32 v35, 0x1f4, v27
	v_lshlrev_b64_e32 v[3:4], 3, v[3:4]
	s_delay_alu instid0(VALU_DEP_4) | instskip(NEXT) | instid1(VALU_DEP_2)
	v_mad_co_u64_u32 v[25:26], null, s16, v36, 0
	v_add_co_u32 v3, vcc_lo, s6, v3
	s_wait_alu 0xfffd
	s_delay_alu instid0(VALU_DEP_3)
	v_add_co_ci_u32_e32 v4, vcc_lo, s7, v4, vcc_lo
	s_wait_loadcnt 0x1
	v_mad_co_u64_u32 v[32:33], null, s17, v27, v[10:11]
	v_mov_b32_e32 v10, v22
	v_mad_co_u64_u32 v[23:24], null, s16, v35, 0
	v_add_nc_u32_e32 v37, 0x3e8, v27
	s_delay_alu instid0(VALU_DEP_3) | instskip(SKIP_1) | instid1(VALU_DEP_4)
	v_mad_co_u64_u32 v[33:34], null, s17, v34, v[10:11]
	v_mov_b32_e32 v10, v32
	v_mov_b32_e32 v22, v24
	s_delay_alu instid0(VALU_DEP_4) | instskip(SKIP_1) | instid1(VALU_DEP_3)
	v_mad_co_u64_u32 v[28:29], null, s16, v37, 0
	v_mov_b32_e32 v24, v26
	v_mad_co_u64_u32 v[34:35], null, s17, v35, v[22:23]
	v_mov_b32_e32 v22, v33
	s_delay_alu instid0(VALU_DEP_3) | instskip(SKIP_1) | instid1(VALU_DEP_4)
	v_mad_co_u64_u32 v[35:36], null, s17, v36, v[24:25]
	v_mov_b32_e32 v26, v29
	v_mov_b32_e32 v24, v34
	s_delay_alu instid0(VALU_DEP_2) | instskip(NEXT) | instid1(VALU_DEP_4)
	v_mad_co_u64_u32 v[36:37], null, s17, v37, v[26:27]
	v_mov_b32_e32 v26, v35
	v_add_co_u32 v27, vcc_lo, v3, v1
	s_wait_alu 0xfffd
	v_add_co_ci_u32_e32 v32, vcc_lo, v4, v2, vcc_lo
	v_lshlrev_b64_e32 v[3:4], 3, v[21:22]
	v_mov_b32_e32 v29, v36
	ds_load_2addr_b32 v[30:31], v30 offset0:4 offset1:254
	v_lshlrev_b64_e32 v[21:22], 3, v[25:26]
	v_mul_f32_e32 v25, v7, v14
	s_wait_dscnt 0x0
	v_mul_f32_e32 v14, v30, v14
	s_delay_alu instid0(VALU_DEP_2) | instskip(NEXT) | instid1(VALU_DEP_2)
	v_fmac_f32_e32 v25, v30, v13
	v_fma_f32 v13, v7, v13, -v14
	v_mul_f32_e32 v26, v6, v12
	v_mul_f32_e32 v12, v20, v12
	s_delay_alu instid0(VALU_DEP_2) | instskip(NEXT) | instid1(VALU_DEP_2)
	v_fmac_f32_e32 v26, v20, v11
	v_fma_f32 v6, v6, v11, -v12
	s_delay_alu instid0(VALU_DEP_2)
	v_sub_f32_e32 v7, v25, v26
	v_lshlrev_b64_e32 v[1:2], 3, v[9:10]
	v_lshlrev_b64_e32 v[9:10], 3, v[23:24]
	;; [unrolled: 1-line block ×3, first 2 shown]
	v_sub_f32_e32 v29, v13, v6
	s_wait_loadcnt 0x0
	v_dual_mul_f32 v28, v0, v18 :: v_dual_sub_f32 v33, v6, v13
	v_add_co_u32 v1, vcc_lo, v27, v1
	s_wait_alu 0xfffd
	v_add_co_ci_u32_e32 v2, vcc_lo, v32, v2, vcc_lo
	v_add_co_u32 v3, vcc_lo, v27, v3
	s_wait_alu 0xfffd
	v_add_co_ci_u32_e32 v4, vcc_lo, v32, v4, vcc_lo
	;; [unrolled: 3-line block ×4, first 2 shown]
	v_add_co_u32 v23, vcc_lo, v27, v23
	v_mul_f32_e32 v27, v8, v16
	v_mul_f32_e32 v16, v31, v16
	s_wait_alu 0xfffd
	v_add_co_ci_u32_e32 v24, vcc_lo, v32, v24, vcc_lo
	s_delay_alu instid0(VALU_DEP_3) | instskip(NEXT) | instid1(VALU_DEP_3)
	v_fmac_f32_e32 v27, v31, v15
	v_fma_f32 v8, v8, v15, -v16
	v_mul_f32_e32 v18, v38, v18
	s_delay_alu instid0(VALU_DEP_3) | instskip(NEXT) | instid1(VALU_DEP_3)
	v_sub_f32_e32 v32, v25, v27
	v_add_f32_e32 v35, v13, v8
	s_delay_alu instid0(VALU_DEP_3) | instskip(NEXT) | instid1(VALU_DEP_1)
	v_fma_f32 v0, v0, v17, -v18
	v_dual_add_f32 v36, v5, v6 :: v_dual_add_f32 v31, v6, v0
	v_fmac_f32_e32 v28, v38, v17
	v_sub_f32_e32 v17, v6, v0
	s_delay_alu instid0(VALU_DEP_3) | instskip(NEXT) | instid1(VALU_DEP_3)
	v_fma_f32 v6, -0.5, v31, v5
	v_dual_sub_f32 v11, v27, v28 :: v_dual_sub_f32 v14, v26, v25
	s_delay_alu instid0(VALU_DEP_1) | instskip(SKIP_4) | instid1(VALU_DEP_2)
	v_add_f32_e32 v37, v7, v11
	v_fma_f32 v11, -0.5, v35, v5
	v_dual_add_f32 v20, v26, v19 :: v_dual_add_f32 v5, v13, v36
	v_sub_f32_e32 v15, v28, v27
	v_add_f32_e32 v16, v25, v27
	v_dual_add_f32 v5, v5, v8 :: v_dual_add_f32 v38, v14, v15
	s_delay_alu instid0(VALU_DEP_4) | instskip(SKIP_1) | instid1(VALU_DEP_2)
	v_add_f32_e32 v15, v25, v20
	v_dual_sub_f32 v18, v13, v8 :: v_dual_fmamk_f32 v13, v32, 0x3f737871, v6
	v_dual_add_f32 v25, v27, v15 :: v_dual_add_f32 v12, v26, v28
	s_delay_alu instid0(VALU_DEP_1) | instskip(NEXT) | instid1(VALU_DEP_1)
	v_fma_f32 v7, -0.5, v12, v19
	v_fmamk_f32 v14, v18, 0xbf737871, v7
	v_dual_fmac_f32 v7, 0x3f737871, v18 :: v_dual_sub_f32 v30, v8, v0
	s_delay_alu instid0(VALU_DEP_2) | instskip(NEXT) | instid1(VALU_DEP_2)
	v_fmac_f32_e32 v14, 0x3f167918, v17
	v_dual_fmac_f32 v7, 0xbf167918, v17 :: v_dual_sub_f32 v26, v26, v28
	s_delay_alu instid0(VALU_DEP_1) | instskip(NEXT) | instid1(VALU_DEP_2)
	v_fmac_f32_e32 v7, 0x3e9e377a, v37
	v_fmamk_f32 v15, v26, 0xbf737871, v11
	v_fma_f32 v12, -0.5, v16, v19
	v_add_f32_e32 v19, v29, v30
	v_fmac_f32_e32 v11, 0x3f737871, v26
	v_dual_fmac_f32 v13, 0xbf167918, v26 :: v_dual_sub_f32 v34, v0, v8
	s_delay_alu instid0(VALU_DEP_4) | instskip(SKIP_2) | instid1(VALU_DEP_4)
	v_fmamk_f32 v16, v17, 0x3f737871, v12
	v_fmac_f32_e32 v12, 0xbf737871, v17
	v_fmac_f32_e32 v6, 0xbf737871, v32
	v_dual_fmac_f32 v13, 0x3e9e377a, v19 :: v_dual_add_f32 v20, v33, v34
	v_fmac_f32_e32 v11, 0x3f167918, v32
	s_delay_alu instid0(VALU_DEP_4) | instskip(NEXT) | instid1(VALU_DEP_4)
	v_fmac_f32_e32 v12, 0xbf167918, v18
	v_fmac_f32_e32 v6, 0x3f167918, v26
	;; [unrolled: 1-line block ×3, first 2 shown]
	v_dual_fmac_f32 v15, 0xbf167918, v32 :: v_dual_add_f32 v18, v28, v25
	v_fmac_f32_e32 v11, 0x3e9e377a, v20
	v_dual_add_f32 v17, v5, v0 :: v_dual_fmac_f32 v12, 0x3e9e377a, v38
	v_fmac_f32_e32 v6, 0x3e9e377a, v19
	s_delay_alu instid0(VALU_DEP_4)
	v_dual_fmac_f32 v14, 0x3e9e377a, v37 :: v_dual_fmac_f32 v15, 0x3e9e377a, v20
	v_fmac_f32_e32 v16, 0x3e9e377a, v38
	s_clause 0x4
	global_store_b64 v[1:2], v[17:18], off
	global_store_b64 v[3:4], v[11:12], off
	;; [unrolled: 1-line block ×5, first 2 shown]
.LBB0_23:
	s_nop 0
	s_sendmsg sendmsg(MSG_DEALLOC_VGPRS)
	s_endpgm
	.section	.rodata,"a",@progbits
	.p2align	6, 0x0
	.amdhsa_kernel fft_rtc_fwd_len1250_factors_5_10_5_5_wgs_250_tpt_250_halfLds_sp_op_CI_CI_sbrr_dirReg
		.amdhsa_group_segment_fixed_size 0
		.amdhsa_private_segment_fixed_size 0
		.amdhsa_kernarg_size 104
		.amdhsa_user_sgpr_count 2
		.amdhsa_user_sgpr_dispatch_ptr 0
		.amdhsa_user_sgpr_queue_ptr 0
		.amdhsa_user_sgpr_kernarg_segment_ptr 1
		.amdhsa_user_sgpr_dispatch_id 0
		.amdhsa_user_sgpr_private_segment_size 0
		.amdhsa_wavefront_size32 1
		.amdhsa_uses_dynamic_stack 0
		.amdhsa_enable_private_segment 0
		.amdhsa_system_sgpr_workgroup_id_x 1
		.amdhsa_system_sgpr_workgroup_id_y 0
		.amdhsa_system_sgpr_workgroup_id_z 0
		.amdhsa_system_sgpr_workgroup_info 0
		.amdhsa_system_vgpr_workitem_id 0
		.amdhsa_next_free_vgpr 57
		.amdhsa_next_free_sgpr 43
		.amdhsa_reserve_vcc 1
		.amdhsa_float_round_mode_32 0
		.amdhsa_float_round_mode_16_64 0
		.amdhsa_float_denorm_mode_32 3
		.amdhsa_float_denorm_mode_16_64 3
		.amdhsa_fp16_overflow 0
		.amdhsa_workgroup_processor_mode 1
		.amdhsa_memory_ordered 1
		.amdhsa_forward_progress 0
		.amdhsa_round_robin_scheduling 0
		.amdhsa_exception_fp_ieee_invalid_op 0
		.amdhsa_exception_fp_denorm_src 0
		.amdhsa_exception_fp_ieee_div_zero 0
		.amdhsa_exception_fp_ieee_overflow 0
		.amdhsa_exception_fp_ieee_underflow 0
		.amdhsa_exception_fp_ieee_inexact 0
		.amdhsa_exception_int_div_zero 0
	.end_amdhsa_kernel
	.text
.Lfunc_end0:
	.size	fft_rtc_fwd_len1250_factors_5_10_5_5_wgs_250_tpt_250_halfLds_sp_op_CI_CI_sbrr_dirReg, .Lfunc_end0-fft_rtc_fwd_len1250_factors_5_10_5_5_wgs_250_tpt_250_halfLds_sp_op_CI_CI_sbrr_dirReg
                                        ; -- End function
	.section	.AMDGPU.csdata,"",@progbits
; Kernel info:
; codeLenInByte = 5988
; NumSgprs: 45
; NumVgprs: 57
; ScratchSize: 0
; MemoryBound: 0
; FloatMode: 240
; IeeeMode: 1
; LDSByteSize: 0 bytes/workgroup (compile time only)
; SGPRBlocks: 5
; VGPRBlocks: 7
; NumSGPRsForWavesPerEU: 45
; NumVGPRsForWavesPerEU: 57
; Occupancy: 16
; WaveLimiterHint : 1
; COMPUTE_PGM_RSRC2:SCRATCH_EN: 0
; COMPUTE_PGM_RSRC2:USER_SGPR: 2
; COMPUTE_PGM_RSRC2:TRAP_HANDLER: 0
; COMPUTE_PGM_RSRC2:TGID_X_EN: 1
; COMPUTE_PGM_RSRC2:TGID_Y_EN: 0
; COMPUTE_PGM_RSRC2:TGID_Z_EN: 0
; COMPUTE_PGM_RSRC2:TIDIG_COMP_CNT: 0
	.text
	.p2alignl 7, 3214868480
	.fill 96, 4, 3214868480
	.type	__hip_cuid_7b320ad53ddf758f,@object ; @__hip_cuid_7b320ad53ddf758f
	.section	.bss,"aw",@nobits
	.globl	__hip_cuid_7b320ad53ddf758f
__hip_cuid_7b320ad53ddf758f:
	.byte	0                               ; 0x0
	.size	__hip_cuid_7b320ad53ddf758f, 1

	.ident	"AMD clang version 19.0.0git (https://github.com/RadeonOpenCompute/llvm-project roc-6.4.0 25133 c7fe45cf4b819c5991fe208aaa96edf142730f1d)"
	.section	".note.GNU-stack","",@progbits
	.addrsig
	.addrsig_sym __hip_cuid_7b320ad53ddf758f
	.amdgpu_metadata
---
amdhsa.kernels:
  - .args:
      - .actual_access:  read_only
        .address_space:  global
        .offset:         0
        .size:           8
        .value_kind:     global_buffer
      - .offset:         8
        .size:           8
        .value_kind:     by_value
      - .actual_access:  read_only
        .address_space:  global
        .offset:         16
        .size:           8
        .value_kind:     global_buffer
      - .actual_access:  read_only
        .address_space:  global
        .offset:         24
        .size:           8
        .value_kind:     global_buffer
      - .actual_access:  read_only
        .address_space:  global
        .offset:         32
        .size:           8
        .value_kind:     global_buffer
      - .offset:         40
        .size:           8
        .value_kind:     by_value
      - .actual_access:  read_only
        .address_space:  global
        .offset:         48
        .size:           8
        .value_kind:     global_buffer
      - .actual_access:  read_only
        .address_space:  global
        .offset:         56
        .size:           8
        .value_kind:     global_buffer
      - .offset:         64
        .size:           4
        .value_kind:     by_value
      - .actual_access:  read_only
        .address_space:  global
        .offset:         72
        .size:           8
        .value_kind:     global_buffer
      - .actual_access:  read_only
        .address_space:  global
        .offset:         80
        .size:           8
        .value_kind:     global_buffer
      - .actual_access:  read_only
        .address_space:  global
        .offset:         88
        .size:           8
        .value_kind:     global_buffer
      - .actual_access:  write_only
        .address_space:  global
        .offset:         96
        .size:           8
        .value_kind:     global_buffer
    .group_segment_fixed_size: 0
    .kernarg_segment_align: 8
    .kernarg_segment_size: 104
    .language:       OpenCL C
    .language_version:
      - 2
      - 0
    .max_flat_workgroup_size: 250
    .name:           fft_rtc_fwd_len1250_factors_5_10_5_5_wgs_250_tpt_250_halfLds_sp_op_CI_CI_sbrr_dirReg
    .private_segment_fixed_size: 0
    .sgpr_count:     45
    .sgpr_spill_count: 0
    .symbol:         fft_rtc_fwd_len1250_factors_5_10_5_5_wgs_250_tpt_250_halfLds_sp_op_CI_CI_sbrr_dirReg.kd
    .uniform_work_group_size: 1
    .uses_dynamic_stack: false
    .vgpr_count:     57
    .vgpr_spill_count: 0
    .wavefront_size: 32
    .workgroup_processor_mode: 1
amdhsa.target:   amdgcn-amd-amdhsa--gfx1201
amdhsa.version:
  - 1
  - 2
...

	.end_amdgpu_metadata
